;; amdgpu-corpus repo=ROCm/rocThrust kind=compiled arch=gfx906 opt=O3
	.amdgcn_target "amdgcn-amd-amdhsa--gfx906"
	.amdhsa_code_object_version 6
	.section	.text._ZN6thrust23THRUST_200600_302600_NS11hip_rocprim14__parallel_for6kernelILj256ENS1_20__uninitialized_fill7functorINS0_10device_ptrIiEEiEEmLj1EEEvT0_T1_SA_,"axG",@progbits,_ZN6thrust23THRUST_200600_302600_NS11hip_rocprim14__parallel_for6kernelILj256ENS1_20__uninitialized_fill7functorINS0_10device_ptrIiEEiEEmLj1EEEvT0_T1_SA_,comdat
	.protected	_ZN6thrust23THRUST_200600_302600_NS11hip_rocprim14__parallel_for6kernelILj256ENS1_20__uninitialized_fill7functorINS0_10device_ptrIiEEiEEmLj1EEEvT0_T1_SA_ ; -- Begin function _ZN6thrust23THRUST_200600_302600_NS11hip_rocprim14__parallel_for6kernelILj256ENS1_20__uninitialized_fill7functorINS0_10device_ptrIiEEiEEmLj1EEEvT0_T1_SA_
	.globl	_ZN6thrust23THRUST_200600_302600_NS11hip_rocprim14__parallel_for6kernelILj256ENS1_20__uninitialized_fill7functorINS0_10device_ptrIiEEiEEmLj1EEEvT0_T1_SA_
	.p2align	8
	.type	_ZN6thrust23THRUST_200600_302600_NS11hip_rocprim14__parallel_for6kernelILj256ENS1_20__uninitialized_fill7functorINS0_10device_ptrIiEEiEEmLj1EEEvT0_T1_SA_,@function
_ZN6thrust23THRUST_200600_302600_NS11hip_rocprim14__parallel_for6kernelILj256ENS1_20__uninitialized_fill7functorINS0_10device_ptrIiEEiEEmLj1EEEvT0_T1_SA_: ; @_ZN6thrust23THRUST_200600_302600_NS11hip_rocprim14__parallel_for6kernelILj256ENS1_20__uninitialized_fill7functorINS0_10device_ptrIiEEiEEmLj1EEEvT0_T1_SA_
; %bb.0:
	s_load_dwordx4 s[12:15], s[4:5], 0x10
	s_load_dwordx2 s[0:1], s[4:5], 0x0
	s_load_dword s8, s[4:5], 0x8
	s_lshl_b32 s2, s6, 8
	v_mov_b32_e32 v1, 0xff
	s_waitcnt lgkmcnt(0)
	s_add_u32 s2, s14, s2
	s_addc_u32 s3, s15, 0
	s_sub_u32 s4, s12, s2
	v_mov_b32_e32 v2, 0
	s_subb_u32 s5, s13, s3
	v_cmp_gt_u64_e32 vcc, s[4:5], v[1:2]
	s_mov_b64 s[6:7], -1
	s_cbranch_vccz .LBB0_3
; %bb.1:
	s_andn2_b64 vcc, exec, s[6:7]
	s_cbranch_vccz .LBB0_6
.LBB0_2:
	s_endpgm
.LBB0_3:
	v_cmp_gt_u32_e32 vcc, s4, v0
	s_and_saveexec_b64 s[4:5], vcc
	s_cbranch_execz .LBB0_5
; %bb.4:
	s_lshl_b64 s[6:7], s[2:3], 2
	s_add_u32 s6, s0, s6
	s_addc_u32 s7, s1, s7
	v_lshlrev_b32_e32 v1, 2, v0
	v_mov_b32_e32 v2, s7
	v_add_co_u32_e32 v1, vcc, s6, v1
	v_addc_co_u32_e32 v2, vcc, 0, v2, vcc
	v_mov_b32_e32 v3, s8
	flat_store_dword v[1:2], v3
.LBB0_5:
	s_or_b64 exec, exec, s[4:5]
	s_cbranch_execnz .LBB0_2
.LBB0_6:
	s_lshl_b64 s[2:3], s[2:3], 2
	s_add_u32 s0, s0, s2
	s_addc_u32 s1, s1, s3
	v_lshlrev_b32_e32 v0, 2, v0
	v_mov_b32_e32 v1, s1
	v_add_co_u32_e32 v0, vcc, s0, v0
	v_addc_co_u32_e32 v1, vcc, 0, v1, vcc
	v_mov_b32_e32 v2, s8
	flat_store_dword v[0:1], v2
	s_endpgm
	.section	.rodata,"a",@progbits
	.p2align	6, 0x0
	.amdhsa_kernel _ZN6thrust23THRUST_200600_302600_NS11hip_rocprim14__parallel_for6kernelILj256ENS1_20__uninitialized_fill7functorINS0_10device_ptrIiEEiEEmLj1EEEvT0_T1_SA_
		.amdhsa_group_segment_fixed_size 0
		.amdhsa_private_segment_fixed_size 0
		.amdhsa_kernarg_size 32
		.amdhsa_user_sgpr_count 6
		.amdhsa_user_sgpr_private_segment_buffer 1
		.amdhsa_user_sgpr_dispatch_ptr 0
		.amdhsa_user_sgpr_queue_ptr 0
		.amdhsa_user_sgpr_kernarg_segment_ptr 1
		.amdhsa_user_sgpr_dispatch_id 0
		.amdhsa_user_sgpr_flat_scratch_init 0
		.amdhsa_user_sgpr_private_segment_size 0
		.amdhsa_uses_dynamic_stack 0
		.amdhsa_system_sgpr_private_segment_wavefront_offset 0
		.amdhsa_system_sgpr_workgroup_id_x 1
		.amdhsa_system_sgpr_workgroup_id_y 0
		.amdhsa_system_sgpr_workgroup_id_z 0
		.amdhsa_system_sgpr_workgroup_info 0
		.amdhsa_system_vgpr_workitem_id 0
		.amdhsa_next_free_vgpr 4
		.amdhsa_next_free_sgpr 16
		.amdhsa_reserve_vcc 1
		.amdhsa_reserve_flat_scratch 0
		.amdhsa_float_round_mode_32 0
		.amdhsa_float_round_mode_16_64 0
		.amdhsa_float_denorm_mode_32 3
		.amdhsa_float_denorm_mode_16_64 3
		.amdhsa_dx10_clamp 1
		.amdhsa_ieee_mode 1
		.amdhsa_fp16_overflow 0
		.amdhsa_exception_fp_ieee_invalid_op 0
		.amdhsa_exception_fp_denorm_src 0
		.amdhsa_exception_fp_ieee_div_zero 0
		.amdhsa_exception_fp_ieee_overflow 0
		.amdhsa_exception_fp_ieee_underflow 0
		.amdhsa_exception_fp_ieee_inexact 0
		.amdhsa_exception_int_div_zero 0
	.end_amdhsa_kernel
	.section	.text._ZN6thrust23THRUST_200600_302600_NS11hip_rocprim14__parallel_for6kernelILj256ENS1_20__uninitialized_fill7functorINS0_10device_ptrIiEEiEEmLj1EEEvT0_T1_SA_,"axG",@progbits,_ZN6thrust23THRUST_200600_302600_NS11hip_rocprim14__parallel_for6kernelILj256ENS1_20__uninitialized_fill7functorINS0_10device_ptrIiEEiEEmLj1EEEvT0_T1_SA_,comdat
.Lfunc_end0:
	.size	_ZN6thrust23THRUST_200600_302600_NS11hip_rocprim14__parallel_for6kernelILj256ENS1_20__uninitialized_fill7functorINS0_10device_ptrIiEEiEEmLj1EEEvT0_T1_SA_, .Lfunc_end0-_ZN6thrust23THRUST_200600_302600_NS11hip_rocprim14__parallel_for6kernelILj256ENS1_20__uninitialized_fill7functorINS0_10device_ptrIiEEiEEmLj1EEEvT0_T1_SA_
                                        ; -- End function
	.set _ZN6thrust23THRUST_200600_302600_NS11hip_rocprim14__parallel_for6kernelILj256ENS1_20__uninitialized_fill7functorINS0_10device_ptrIiEEiEEmLj1EEEvT0_T1_SA_.num_vgpr, 4
	.set _ZN6thrust23THRUST_200600_302600_NS11hip_rocprim14__parallel_for6kernelILj256ENS1_20__uninitialized_fill7functorINS0_10device_ptrIiEEiEEmLj1EEEvT0_T1_SA_.num_agpr, 0
	.set _ZN6thrust23THRUST_200600_302600_NS11hip_rocprim14__parallel_for6kernelILj256ENS1_20__uninitialized_fill7functorINS0_10device_ptrIiEEiEEmLj1EEEvT0_T1_SA_.numbered_sgpr, 16
	.set _ZN6thrust23THRUST_200600_302600_NS11hip_rocprim14__parallel_for6kernelILj256ENS1_20__uninitialized_fill7functorINS0_10device_ptrIiEEiEEmLj1EEEvT0_T1_SA_.num_named_barrier, 0
	.set _ZN6thrust23THRUST_200600_302600_NS11hip_rocprim14__parallel_for6kernelILj256ENS1_20__uninitialized_fill7functorINS0_10device_ptrIiEEiEEmLj1EEEvT0_T1_SA_.private_seg_size, 0
	.set _ZN6thrust23THRUST_200600_302600_NS11hip_rocprim14__parallel_for6kernelILj256ENS1_20__uninitialized_fill7functorINS0_10device_ptrIiEEiEEmLj1EEEvT0_T1_SA_.uses_vcc, 1
	.set _ZN6thrust23THRUST_200600_302600_NS11hip_rocprim14__parallel_for6kernelILj256ENS1_20__uninitialized_fill7functorINS0_10device_ptrIiEEiEEmLj1EEEvT0_T1_SA_.uses_flat_scratch, 0
	.set _ZN6thrust23THRUST_200600_302600_NS11hip_rocprim14__parallel_for6kernelILj256ENS1_20__uninitialized_fill7functorINS0_10device_ptrIiEEiEEmLj1EEEvT0_T1_SA_.has_dyn_sized_stack, 0
	.set _ZN6thrust23THRUST_200600_302600_NS11hip_rocprim14__parallel_for6kernelILj256ENS1_20__uninitialized_fill7functorINS0_10device_ptrIiEEiEEmLj1EEEvT0_T1_SA_.has_recursion, 0
	.set _ZN6thrust23THRUST_200600_302600_NS11hip_rocprim14__parallel_for6kernelILj256ENS1_20__uninitialized_fill7functorINS0_10device_ptrIiEEiEEmLj1EEEvT0_T1_SA_.has_indirect_call, 0
	.section	.AMDGPU.csdata,"",@progbits
; Kernel info:
; codeLenInByte = 188
; TotalNumSgprs: 20
; NumVgprs: 4
; ScratchSize: 0
; MemoryBound: 0
; FloatMode: 240
; IeeeMode: 1
; LDSByteSize: 0 bytes/workgroup (compile time only)
; SGPRBlocks: 2
; VGPRBlocks: 0
; NumSGPRsForWavesPerEU: 20
; NumVGPRsForWavesPerEU: 4
; Occupancy: 10
; WaveLimiterHint : 0
; COMPUTE_PGM_RSRC2:SCRATCH_EN: 0
; COMPUTE_PGM_RSRC2:USER_SGPR: 6
; COMPUTE_PGM_RSRC2:TRAP_HANDLER: 0
; COMPUTE_PGM_RSRC2:TGID_X_EN: 1
; COMPUTE_PGM_RSRC2:TGID_Y_EN: 0
; COMPUTE_PGM_RSRC2:TGID_Z_EN: 0
; COMPUTE_PGM_RSRC2:TIDIG_COMP_CNT: 0
	.section	.text._ZN6thrust23THRUST_200600_302600_NS11hip_rocprim14__parallel_for6kernelILj256ENS1_20__uninitialized_copy7functorINS0_6detail15normal_iteratorINS0_10device_ptrIiEEEENS0_7pointerIiNS1_3tagENS0_11use_defaultESD_EEEEmLj1EEEvT0_T1_SH_,"axG",@progbits,_ZN6thrust23THRUST_200600_302600_NS11hip_rocprim14__parallel_for6kernelILj256ENS1_20__uninitialized_copy7functorINS0_6detail15normal_iteratorINS0_10device_ptrIiEEEENS0_7pointerIiNS1_3tagENS0_11use_defaultESD_EEEEmLj1EEEvT0_T1_SH_,comdat
	.protected	_ZN6thrust23THRUST_200600_302600_NS11hip_rocprim14__parallel_for6kernelILj256ENS1_20__uninitialized_copy7functorINS0_6detail15normal_iteratorINS0_10device_ptrIiEEEENS0_7pointerIiNS1_3tagENS0_11use_defaultESD_EEEEmLj1EEEvT0_T1_SH_ ; -- Begin function _ZN6thrust23THRUST_200600_302600_NS11hip_rocprim14__parallel_for6kernelILj256ENS1_20__uninitialized_copy7functorINS0_6detail15normal_iteratorINS0_10device_ptrIiEEEENS0_7pointerIiNS1_3tagENS0_11use_defaultESD_EEEEmLj1EEEvT0_T1_SH_
	.globl	_ZN6thrust23THRUST_200600_302600_NS11hip_rocprim14__parallel_for6kernelILj256ENS1_20__uninitialized_copy7functorINS0_6detail15normal_iteratorINS0_10device_ptrIiEEEENS0_7pointerIiNS1_3tagENS0_11use_defaultESD_EEEEmLj1EEEvT0_T1_SH_
	.p2align	8
	.type	_ZN6thrust23THRUST_200600_302600_NS11hip_rocprim14__parallel_for6kernelILj256ENS1_20__uninitialized_copy7functorINS0_6detail15normal_iteratorINS0_10device_ptrIiEEEENS0_7pointerIiNS1_3tagENS0_11use_defaultESD_EEEEmLj1EEEvT0_T1_SH_,@function
_ZN6thrust23THRUST_200600_302600_NS11hip_rocprim14__parallel_for6kernelILj256ENS1_20__uninitialized_copy7functorINS0_6detail15normal_iteratorINS0_10device_ptrIiEEEENS0_7pointerIiNS1_3tagENS0_11use_defaultESD_EEEEmLj1EEEvT0_T1_SH_: ; @_ZN6thrust23THRUST_200600_302600_NS11hip_rocprim14__parallel_for6kernelILj256ENS1_20__uninitialized_copy7functorINS0_6detail15normal_iteratorINS0_10device_ptrIiEEEENS0_7pointerIiNS1_3tagENS0_11use_defaultESD_EEEEmLj1EEEvT0_T1_SH_
; %bb.0:
	s_load_dwordx8 s[8:15], s[4:5], 0x0
	s_lshl_b32 s0, s6, 8
	v_mov_b32_e32 v1, 0xff
	v_mov_b32_e32 v2, 0
	s_mov_b64 s[2:3], -1
	s_waitcnt lgkmcnt(0)
	s_add_u32 s4, s14, s0
	s_addc_u32 s5, s15, 0
	s_sub_u32 s0, s12, s4
	s_subb_u32 s1, s13, s5
	v_cmp_gt_u64_e32 vcc, s[0:1], v[1:2]
	s_cbranch_vccz .LBB1_3
; %bb.1:
	s_andn2_b64 vcc, exec, s[2:3]
	s_cbranch_vccz .LBB1_6
.LBB1_2:
	s_endpgm
.LBB1_3:
	v_cmp_gt_u32_e32 vcc, s0, v0
	s_and_saveexec_b64 s[0:1], vcc
	s_cbranch_execz .LBB1_5
; %bb.4:
	v_mov_b32_e32 v2, s5
	v_add_co_u32_e32 v1, vcc, s4, v0
	v_addc_co_u32_e32 v2, vcc, 0, v2, vcc
	v_lshlrev_b64 v[1:2], 2, v[1:2]
	v_mov_b32_e32 v4, s9
	v_add_co_u32_e32 v3, vcc, s8, v1
	v_addc_co_u32_e32 v4, vcc, v4, v2, vcc
	flat_load_dword v3, v[3:4]
	v_mov_b32_e32 v4, s11
	v_add_co_u32_e32 v1, vcc, s10, v1
	v_addc_co_u32_e32 v2, vcc, v4, v2, vcc
	s_waitcnt vmcnt(0) lgkmcnt(0)
	flat_store_dword v[1:2], v3
.LBB1_5:
	s_or_b64 exec, exec, s[0:1]
	s_cbranch_execnz .LBB1_2
.LBB1_6:
	v_mov_b32_e32 v1, s5
	v_add_co_u32_e32 v0, vcc, s4, v0
	v_addc_co_u32_e32 v1, vcc, 0, v1, vcc
	v_lshlrev_b64 v[0:1], 2, v[0:1]
	v_mov_b32_e32 v3, s9
	v_add_co_u32_e32 v2, vcc, s8, v0
	v_addc_co_u32_e32 v3, vcc, v3, v1, vcc
	flat_load_dword v2, v[2:3]
	v_mov_b32_e32 v3, s11
	v_add_co_u32_e32 v0, vcc, s10, v0
	v_addc_co_u32_e32 v1, vcc, v3, v1, vcc
	s_waitcnt vmcnt(0) lgkmcnt(0)
	flat_store_dword v[0:1], v2
	s_endpgm
	.section	.rodata,"a",@progbits
	.p2align	6, 0x0
	.amdhsa_kernel _ZN6thrust23THRUST_200600_302600_NS11hip_rocprim14__parallel_for6kernelILj256ENS1_20__uninitialized_copy7functorINS0_6detail15normal_iteratorINS0_10device_ptrIiEEEENS0_7pointerIiNS1_3tagENS0_11use_defaultESD_EEEEmLj1EEEvT0_T1_SH_
		.amdhsa_group_segment_fixed_size 0
		.amdhsa_private_segment_fixed_size 0
		.amdhsa_kernarg_size 32
		.amdhsa_user_sgpr_count 6
		.amdhsa_user_sgpr_private_segment_buffer 1
		.amdhsa_user_sgpr_dispatch_ptr 0
		.amdhsa_user_sgpr_queue_ptr 0
		.amdhsa_user_sgpr_kernarg_segment_ptr 1
		.amdhsa_user_sgpr_dispatch_id 0
		.amdhsa_user_sgpr_flat_scratch_init 0
		.amdhsa_user_sgpr_private_segment_size 0
		.amdhsa_uses_dynamic_stack 0
		.amdhsa_system_sgpr_private_segment_wavefront_offset 0
		.amdhsa_system_sgpr_workgroup_id_x 1
		.amdhsa_system_sgpr_workgroup_id_y 0
		.amdhsa_system_sgpr_workgroup_id_z 0
		.amdhsa_system_sgpr_workgroup_info 0
		.amdhsa_system_vgpr_workitem_id 0
		.amdhsa_next_free_vgpr 5
		.amdhsa_next_free_sgpr 16
		.amdhsa_reserve_vcc 1
		.amdhsa_reserve_flat_scratch 0
		.amdhsa_float_round_mode_32 0
		.amdhsa_float_round_mode_16_64 0
		.amdhsa_float_denorm_mode_32 3
		.amdhsa_float_denorm_mode_16_64 3
		.amdhsa_dx10_clamp 1
		.amdhsa_ieee_mode 1
		.amdhsa_fp16_overflow 0
		.amdhsa_exception_fp_ieee_invalid_op 0
		.amdhsa_exception_fp_denorm_src 0
		.amdhsa_exception_fp_ieee_div_zero 0
		.amdhsa_exception_fp_ieee_overflow 0
		.amdhsa_exception_fp_ieee_underflow 0
		.amdhsa_exception_fp_ieee_inexact 0
		.amdhsa_exception_int_div_zero 0
	.end_amdhsa_kernel
	.section	.text._ZN6thrust23THRUST_200600_302600_NS11hip_rocprim14__parallel_for6kernelILj256ENS1_20__uninitialized_copy7functorINS0_6detail15normal_iteratorINS0_10device_ptrIiEEEENS0_7pointerIiNS1_3tagENS0_11use_defaultESD_EEEEmLj1EEEvT0_T1_SH_,"axG",@progbits,_ZN6thrust23THRUST_200600_302600_NS11hip_rocprim14__parallel_for6kernelILj256ENS1_20__uninitialized_copy7functorINS0_6detail15normal_iteratorINS0_10device_ptrIiEEEENS0_7pointerIiNS1_3tagENS0_11use_defaultESD_EEEEmLj1EEEvT0_T1_SH_,comdat
.Lfunc_end1:
	.size	_ZN6thrust23THRUST_200600_302600_NS11hip_rocprim14__parallel_for6kernelILj256ENS1_20__uninitialized_copy7functorINS0_6detail15normal_iteratorINS0_10device_ptrIiEEEENS0_7pointerIiNS1_3tagENS0_11use_defaultESD_EEEEmLj1EEEvT0_T1_SH_, .Lfunc_end1-_ZN6thrust23THRUST_200600_302600_NS11hip_rocprim14__parallel_for6kernelILj256ENS1_20__uninitialized_copy7functorINS0_6detail15normal_iteratorINS0_10device_ptrIiEEEENS0_7pointerIiNS1_3tagENS0_11use_defaultESD_EEEEmLj1EEEvT0_T1_SH_
                                        ; -- End function
	.set _ZN6thrust23THRUST_200600_302600_NS11hip_rocprim14__parallel_for6kernelILj256ENS1_20__uninitialized_copy7functorINS0_6detail15normal_iteratorINS0_10device_ptrIiEEEENS0_7pointerIiNS1_3tagENS0_11use_defaultESD_EEEEmLj1EEEvT0_T1_SH_.num_vgpr, 5
	.set _ZN6thrust23THRUST_200600_302600_NS11hip_rocprim14__parallel_for6kernelILj256ENS1_20__uninitialized_copy7functorINS0_6detail15normal_iteratorINS0_10device_ptrIiEEEENS0_7pointerIiNS1_3tagENS0_11use_defaultESD_EEEEmLj1EEEvT0_T1_SH_.num_agpr, 0
	.set _ZN6thrust23THRUST_200600_302600_NS11hip_rocprim14__parallel_for6kernelILj256ENS1_20__uninitialized_copy7functorINS0_6detail15normal_iteratorINS0_10device_ptrIiEEEENS0_7pointerIiNS1_3tagENS0_11use_defaultESD_EEEEmLj1EEEvT0_T1_SH_.numbered_sgpr, 16
	.set _ZN6thrust23THRUST_200600_302600_NS11hip_rocprim14__parallel_for6kernelILj256ENS1_20__uninitialized_copy7functorINS0_6detail15normal_iteratorINS0_10device_ptrIiEEEENS0_7pointerIiNS1_3tagENS0_11use_defaultESD_EEEEmLj1EEEvT0_T1_SH_.num_named_barrier, 0
	.set _ZN6thrust23THRUST_200600_302600_NS11hip_rocprim14__parallel_for6kernelILj256ENS1_20__uninitialized_copy7functorINS0_6detail15normal_iteratorINS0_10device_ptrIiEEEENS0_7pointerIiNS1_3tagENS0_11use_defaultESD_EEEEmLj1EEEvT0_T1_SH_.private_seg_size, 0
	.set _ZN6thrust23THRUST_200600_302600_NS11hip_rocprim14__parallel_for6kernelILj256ENS1_20__uninitialized_copy7functorINS0_6detail15normal_iteratorINS0_10device_ptrIiEEEENS0_7pointerIiNS1_3tagENS0_11use_defaultESD_EEEEmLj1EEEvT0_T1_SH_.uses_vcc, 1
	.set _ZN6thrust23THRUST_200600_302600_NS11hip_rocprim14__parallel_for6kernelILj256ENS1_20__uninitialized_copy7functorINS0_6detail15normal_iteratorINS0_10device_ptrIiEEEENS0_7pointerIiNS1_3tagENS0_11use_defaultESD_EEEEmLj1EEEvT0_T1_SH_.uses_flat_scratch, 0
	.set _ZN6thrust23THRUST_200600_302600_NS11hip_rocprim14__parallel_for6kernelILj256ENS1_20__uninitialized_copy7functorINS0_6detail15normal_iteratorINS0_10device_ptrIiEEEENS0_7pointerIiNS1_3tagENS0_11use_defaultESD_EEEEmLj1EEEvT0_T1_SH_.has_dyn_sized_stack, 0
	.set _ZN6thrust23THRUST_200600_302600_NS11hip_rocprim14__parallel_for6kernelILj256ENS1_20__uninitialized_copy7functorINS0_6detail15normal_iteratorINS0_10device_ptrIiEEEENS0_7pointerIiNS1_3tagENS0_11use_defaultESD_EEEEmLj1EEEvT0_T1_SH_.has_recursion, 0
	.set _ZN6thrust23THRUST_200600_302600_NS11hip_rocprim14__parallel_for6kernelILj256ENS1_20__uninitialized_copy7functorINS0_6detail15normal_iteratorINS0_10device_ptrIiEEEENS0_7pointerIiNS1_3tagENS0_11use_defaultESD_EEEEmLj1EEEvT0_T1_SH_.has_indirect_call, 0
	.section	.AMDGPU.csdata,"",@progbits
; Kernel info:
; codeLenInByte = 220
; TotalNumSgprs: 20
; NumVgprs: 5
; ScratchSize: 0
; MemoryBound: 0
; FloatMode: 240
; IeeeMode: 1
; LDSByteSize: 0 bytes/workgroup (compile time only)
; SGPRBlocks: 2
; VGPRBlocks: 1
; NumSGPRsForWavesPerEU: 20
; NumVGPRsForWavesPerEU: 5
; Occupancy: 10
; WaveLimiterHint : 0
; COMPUTE_PGM_RSRC2:SCRATCH_EN: 0
; COMPUTE_PGM_RSRC2:USER_SGPR: 6
; COMPUTE_PGM_RSRC2:TRAP_HANDLER: 0
; COMPUTE_PGM_RSRC2:TGID_X_EN: 1
; COMPUTE_PGM_RSRC2:TGID_Y_EN: 0
; COMPUTE_PGM_RSRC2:TGID_Z_EN: 0
; COMPUTE_PGM_RSRC2:TIDIG_COMP_CNT: 0
	.section	.text._ZN6thrust23THRUST_200600_302600_NS11hip_rocprim14__parallel_for6kernelILj256ENS1_20__uninitialized_copy7functorINS0_20permutation_iteratorINS0_6detail15normal_iteratorINS0_10device_ptrIiEEEENS0_18transform_iteratorIN14repeated_rangeISB_E14repeat_functorENS0_17counting_iteratorIlNS0_11use_defaultESH_SH_EESH_SH_EEEENS0_7pointerIiNS1_3tagESH_SH_EEEEmLj1EEEvT0_T1_SQ_,"axG",@progbits,_ZN6thrust23THRUST_200600_302600_NS11hip_rocprim14__parallel_for6kernelILj256ENS1_20__uninitialized_copy7functorINS0_20permutation_iteratorINS0_6detail15normal_iteratorINS0_10device_ptrIiEEEENS0_18transform_iteratorIN14repeated_rangeISB_E14repeat_functorENS0_17counting_iteratorIlNS0_11use_defaultESH_SH_EESH_SH_EEEENS0_7pointerIiNS1_3tagESH_SH_EEEEmLj1EEEvT0_T1_SQ_,comdat
	.protected	_ZN6thrust23THRUST_200600_302600_NS11hip_rocprim14__parallel_for6kernelILj256ENS1_20__uninitialized_copy7functorINS0_20permutation_iteratorINS0_6detail15normal_iteratorINS0_10device_ptrIiEEEENS0_18transform_iteratorIN14repeated_rangeISB_E14repeat_functorENS0_17counting_iteratorIlNS0_11use_defaultESH_SH_EESH_SH_EEEENS0_7pointerIiNS1_3tagESH_SH_EEEEmLj1EEEvT0_T1_SQ_ ; -- Begin function _ZN6thrust23THRUST_200600_302600_NS11hip_rocprim14__parallel_for6kernelILj256ENS1_20__uninitialized_copy7functorINS0_20permutation_iteratorINS0_6detail15normal_iteratorINS0_10device_ptrIiEEEENS0_18transform_iteratorIN14repeated_rangeISB_E14repeat_functorENS0_17counting_iteratorIlNS0_11use_defaultESH_SH_EESH_SH_EEEENS0_7pointerIiNS1_3tagESH_SH_EEEEmLj1EEEvT0_T1_SQ_
	.globl	_ZN6thrust23THRUST_200600_302600_NS11hip_rocprim14__parallel_for6kernelILj256ENS1_20__uninitialized_copy7functorINS0_20permutation_iteratorINS0_6detail15normal_iteratorINS0_10device_ptrIiEEEENS0_18transform_iteratorIN14repeated_rangeISB_E14repeat_functorENS0_17counting_iteratorIlNS0_11use_defaultESH_SH_EESH_SH_EEEENS0_7pointerIiNS1_3tagESH_SH_EEEEmLj1EEEvT0_T1_SQ_
	.p2align	8
	.type	_ZN6thrust23THRUST_200600_302600_NS11hip_rocprim14__parallel_for6kernelILj256ENS1_20__uninitialized_copy7functorINS0_20permutation_iteratorINS0_6detail15normal_iteratorINS0_10device_ptrIiEEEENS0_18transform_iteratorIN14repeated_rangeISB_E14repeat_functorENS0_17counting_iteratorIlNS0_11use_defaultESH_SH_EESH_SH_EEEENS0_7pointerIiNS1_3tagESH_SH_EEEEmLj1EEEvT0_T1_SQ_,@function
_ZN6thrust23THRUST_200600_302600_NS11hip_rocprim14__parallel_for6kernelILj256ENS1_20__uninitialized_copy7functorINS0_20permutation_iteratorINS0_6detail15normal_iteratorINS0_10device_ptrIiEEEENS0_18transform_iteratorIN14repeated_rangeISB_E14repeat_functorENS0_17counting_iteratorIlNS0_11use_defaultESH_SH_EESH_SH_EEEENS0_7pointerIiNS1_3tagESH_SH_EEEEmLj1EEEvT0_T1_SQ_: ; @_ZN6thrust23THRUST_200600_302600_NS11hip_rocprim14__parallel_for6kernelILj256ENS1_20__uninitialized_copy7functorINS0_20permutation_iteratorINS0_6detail15normal_iteratorINS0_10device_ptrIiEEEENS0_18transform_iteratorIN14repeated_rangeISB_E14repeat_functorENS0_17counting_iteratorIlNS0_11use_defaultESH_SH_EESH_SH_EEEENS0_7pointerIiNS1_3tagESH_SH_EEEEmLj1EEEvT0_T1_SQ_
; %bb.0:
	s_load_dwordx4 s[0:3], s[4:5], 0x20
	s_load_dwordx8 s[8:15], s[4:5], 0x0
	s_lshl_b32 s4, s6, 8
	v_mov_b32_e32 v1, 0xff
	v_mov_b32_e32 v2, 0
	s_waitcnt lgkmcnt(0)
	s_add_u32 s18, s2, s4
	s_addc_u32 s19, s3, 0
	s_sub_u32 s0, s0, s18
	s_subb_u32 s1, s1, s19
	v_cmp_gt_u64_e32 vcc, s[0:1], v[1:2]
	s_mov_b64 s[2:3], -1
	s_cbranch_vccz .LBB2_3
; %bb.1:
	s_andn2_b64 vcc, exec, s[2:3]
	s_cbranch_vccz .LBB2_10
.LBB2_2:
	s_endpgm
.LBB2_3:
	v_cmp_gt_u32_e32 vcc, s0, v0
	s_and_saveexec_b64 s[2:3], vcc
	s_cbranch_execz .LBB2_9
; %bb.4:
	v_mov_b32_e32 v2, s19
	v_add_co_u32_e32 v1, vcc, s18, v0
	v_addc_co_u32_e32 v2, vcc, 0, v2, vcc
	v_mov_b32_e32 v4, s9
	v_add_co_u32_e32 v5, vcc, s8, v1
	v_addc_co_u32_e32 v6, vcc, v4, v2, vcc
	v_mov_b32_e32 v3, 0
	v_or_b32_e32 v4, s11, v6
	v_cmp_ne_u64_e32 vcc, 0, v[3:4]
                                        ; implicit-def: $vgpr3_vgpr4
	s_and_saveexec_b64 s[0:1], vcc
	s_xor_b64 s[4:5], exec, s[0:1]
	s_cbranch_execz .LBB2_6
; %bb.5:
	s_ashr_i32 s6, s11, 31
	s_add_u32 s0, s10, s6
	s_mov_b32 s7, s6
	s_addc_u32 s1, s11, s6
	s_xor_b64 s[16:17], s[0:1], s[6:7]
	v_cvt_f32_u32_e32 v3, s16
	v_cvt_f32_u32_e32 v4, s17
	s_sub_u32 s7, 0, s16
	s_subb_u32 s20, 0, s17
	v_ashrrev_i32_e32 v7, 31, v6
	v_madmk_f32 v3, v4, 0x4f800000, v3
	v_rcp_f32_e32 v3, v3
	v_mul_f32_e32 v3, 0x5f7ffffc, v3
	v_mul_f32_e32 v4, 0x2f800000, v3
	v_trunc_f32_e32 v4, v4
	v_madmk_f32 v3, v4, 0xcf800000, v3
	v_cvt_u32_f32_e32 v4, v4
	v_cvt_u32_f32_e32 v3, v3
	v_readfirstlane_b32 s21, v4
	v_readfirstlane_b32 s0, v3
	s_mul_i32 s1, s7, s21
	s_mul_hi_u32 s23, s7, s0
	s_mul_i32 s22, s20, s0
	s_add_i32 s1, s23, s1
	s_add_i32 s1, s1, s22
	s_mul_i32 s24, s7, s0
	s_mul_i32 s23, s0, s1
	s_mul_hi_u32 s25, s0, s24
	s_mul_hi_u32 s22, s0, s1
	s_add_u32 s23, s25, s23
	s_addc_u32 s22, 0, s22
	s_mul_hi_u32 s26, s21, s24
	s_mul_i32 s24, s21, s24
	s_add_u32 s23, s23, s24
	s_mul_hi_u32 s25, s21, s1
	s_addc_u32 s22, s22, s26
	s_addc_u32 s23, s25, 0
	s_mul_i32 s1, s21, s1
	s_add_u32 s1, s22, s1
	s_addc_u32 s22, 0, s23
	s_add_u32 s23, s0, s1
	s_cselect_b64 s[0:1], -1, 0
	s_cmp_lg_u64 s[0:1], 0
	s_addc_u32 s21, s21, s22
	s_mul_i32 s0, s7, s21
	s_mul_hi_u32 s1, s7, s23
	s_add_i32 s0, s1, s0
	s_mul_i32 s20, s20, s23
	s_add_i32 s0, s0, s20
	s_mul_i32 s7, s7, s23
	s_mul_hi_u32 s20, s21, s7
	s_mul_i32 s22, s21, s7
	s_mul_i32 s25, s23, s0
	s_mul_hi_u32 s7, s23, s7
	s_mul_hi_u32 s24, s23, s0
	s_add_u32 s7, s7, s25
	s_addc_u32 s24, 0, s24
	s_add_u32 s7, s7, s22
	s_mul_hi_u32 s1, s21, s0
	s_addc_u32 s7, s24, s20
	s_addc_u32 s1, s1, 0
	s_mul_i32 s0, s21, s0
	s_add_u32 s0, s7, s0
	s_addc_u32 s7, 0, s1
	s_add_u32 s20, s23, s0
	s_cselect_b64 s[0:1], -1, 0
	s_cmp_lg_u64 s[0:1], 0
	v_add_co_u32_e32 v3, vcc, v5, v7
	s_addc_u32 s7, s21, s7
	v_xor_b32_e32 v8, v3, v7
	v_addc_co_u32_e32 v5, vcc, v6, v7, vcc
	v_mad_u64_u32 v[3:4], s[0:1], v8, s7, 0
	v_mul_hi_u32 v6, v8, s20
	v_xor_b32_e32 v9, v5, v7
	v_add_co_u32_e32 v10, vcc, v6, v3
	v_addc_co_u32_e32 v11, vcc, 0, v4, vcc
	v_mad_u64_u32 v[3:4], s[0:1], v9, s20, 0
	v_mad_u64_u32 v[5:6], s[0:1], v9, s7, 0
	v_add_co_u32_e32 v3, vcc, v10, v3
	v_addc_co_u32_e32 v3, vcc, v11, v4, vcc
	v_addc_co_u32_e32 v4, vcc, 0, v6, vcc
	v_add_co_u32_e32 v5, vcc, v3, v5
	v_addc_co_u32_e32 v6, vcc, 0, v4, vcc
	v_mul_lo_u32 v10, s17, v5
	v_mul_lo_u32 v11, s16, v6
	v_mad_u64_u32 v[3:4], s[0:1], s16, v5, 0
	v_add3_u32 v4, v4, v11, v10
	v_sub_u32_e32 v10, v9, v4
	v_mov_b32_e32 v11, s17
	v_sub_co_u32_e32 v3, vcc, v8, v3
	v_subb_co_u32_e64 v8, s[0:1], v10, v11, vcc
	v_subrev_co_u32_e64 v10, s[0:1], s16, v3
	v_subbrev_co_u32_e64 v8, s[0:1], 0, v8, s[0:1]
	v_cmp_le_u32_e64 s[0:1], s17, v8
	v_cndmask_b32_e64 v11, 0, -1, s[0:1]
	v_cmp_le_u32_e64 s[0:1], s16, v10
	v_cndmask_b32_e64 v10, 0, -1, s[0:1]
	v_cmp_eq_u32_e64 s[0:1], s17, v8
	v_cndmask_b32_e64 v8, v11, v10, s[0:1]
	v_add_co_u32_e64 v10, s[0:1], 2, v5
	v_subb_co_u32_e32 v4, vcc, v9, v4, vcc
	v_addc_co_u32_e64 v11, s[0:1], 0, v6, s[0:1]
	v_cmp_le_u32_e32 vcc, s17, v4
	v_add_co_u32_e64 v12, s[0:1], 1, v5
	v_cndmask_b32_e64 v9, 0, -1, vcc
	v_cmp_le_u32_e32 vcc, s16, v3
	v_addc_co_u32_e64 v13, s[0:1], 0, v6, s[0:1]
	v_cndmask_b32_e64 v3, 0, -1, vcc
	v_cmp_eq_u32_e32 vcc, s17, v4
	v_cmp_ne_u32_e64 s[0:1], 0, v8
	v_cndmask_b32_e32 v3, v9, v3, vcc
	v_cndmask_b32_e64 v8, v13, v11, s[0:1]
	v_cmp_ne_u32_e32 vcc, 0, v3
	v_cndmask_b32_e64 v4, v12, v10, s[0:1]
	v_cndmask_b32_e32 v3, v6, v8, vcc
	v_cndmask_b32_e32 v4, v5, v4, vcc
	v_xor_b32_e32 v5, s6, v7
	v_xor_b32_e32 v6, v3, v5
	;; [unrolled: 1-line block ×3, first 2 shown]
	v_sub_co_u32_e32 v3, vcc, v3, v5
	v_subb_co_u32_e32 v4, vcc, v6, v5, vcc
                                        ; implicit-def: $vgpr5
.LBB2_6:
	s_andn2_saveexec_b64 s[0:1], s[4:5]
	s_cbranch_execz .LBB2_8
; %bb.7:
	v_cvt_f32_u32_e32 v3, s10
	s_sub_i32 s4, 0, s10
	v_rcp_iflag_f32_e32 v3, v3
	v_mul_f32_e32 v3, 0x4f7ffffe, v3
	v_cvt_u32_f32_e32 v3, v3
	v_mul_lo_u32 v4, s4, v3
	v_mul_hi_u32 v4, v3, v4
	v_add_u32_e32 v3, v3, v4
	v_mul_hi_u32 v3, v5, v3
	v_mul_lo_u32 v4, v3, s10
	v_add_u32_e32 v6, 1, v3
	v_sub_u32_e32 v4, v5, v4
	v_subrev_u32_e32 v5, s10, v4
	v_cmp_le_u32_e32 vcc, s10, v4
	v_cndmask_b32_e32 v4, v4, v5, vcc
	v_cndmask_b32_e32 v3, v3, v6, vcc
	v_add_u32_e32 v5, 1, v3
	v_cmp_le_u32_e32 vcc, s10, v4
	v_cndmask_b32_e32 v3, v3, v5, vcc
	v_mov_b32_e32 v4, 0
.LBB2_8:
	s_or_b64 exec, exec, s[0:1]
	v_lshlrev_b64 v[3:4], 2, v[3:4]
	v_mov_b32_e32 v5, s13
	v_add_co_u32_e32 v3, vcc, s12, v3
	v_addc_co_u32_e32 v4, vcc, v5, v4, vcc
	global_load_dword v3, v[3:4], off
	v_lshlrev_b64 v[1:2], 2, v[1:2]
	v_mov_b32_e32 v4, s15
	v_add_co_u32_e32 v1, vcc, s14, v1
	v_addc_co_u32_e32 v2, vcc, v4, v2, vcc
	s_waitcnt vmcnt(0)
	flat_store_dword v[1:2], v3
.LBB2_9:
	s_or_b64 exec, exec, s[2:3]
	s_cbranch_execnz .LBB2_2
.LBB2_10:
	v_mov_b32_e32 v1, s19
	v_add_co_u32_e32 v0, vcc, s18, v0
	v_addc_co_u32_e32 v1, vcc, 0, v1, vcc
	v_mov_b32_e32 v3, s9
	v_add_co_u32_e32 v4, vcc, s8, v0
	v_addc_co_u32_e32 v5, vcc, v3, v1, vcc
	v_mov_b32_e32 v2, 0
	v_or_b32_e32 v3, s11, v5
	v_cmp_ne_u64_e32 vcc, 0, v[2:3]
                                        ; implicit-def: $vgpr2_vgpr3
	s_and_saveexec_b64 s[0:1], vcc
	s_xor_b64 s[2:3], exec, s[0:1]
	s_cbranch_execz .LBB2_12
; %bb.11:
	s_ashr_i32 s4, s11, 31
	s_add_u32 s0, s10, s4
	s_mov_b32 s5, s4
	s_addc_u32 s1, s11, s4
	s_xor_b64 s[6:7], s[0:1], s[4:5]
	v_cvt_f32_u32_e32 v2, s6
	v_cvt_f32_u32_e32 v3, s7
	s_sub_u32 s5, 0, s6
	s_subb_u32 s8, 0, s7
	v_ashrrev_i32_e32 v6, 31, v5
	v_madmk_f32 v2, v3, 0x4f800000, v2
	v_rcp_f32_e32 v2, v2
	v_mul_f32_e32 v2, 0x5f7ffffc, v2
	v_mul_f32_e32 v3, 0x2f800000, v2
	v_trunc_f32_e32 v3, v3
	v_madmk_f32 v2, v3, 0xcf800000, v2
	v_cvt_u32_f32_e32 v3, v3
	v_cvt_u32_f32_e32 v2, v2
	v_readfirstlane_b32 s9, v3
	v_readfirstlane_b32 s0, v2
	s_mul_i32 s1, s5, s9
	s_mul_hi_u32 s16, s5, s0
	s_mul_i32 s11, s8, s0
	s_add_i32 s1, s16, s1
	s_add_i32 s1, s1, s11
	s_mul_i32 s17, s5, s0
	s_mul_i32 s16, s0, s1
	s_mul_hi_u32 s18, s0, s17
	s_mul_hi_u32 s11, s0, s1
	s_add_u32 s16, s18, s16
	s_addc_u32 s11, 0, s11
	s_mul_hi_u32 s19, s9, s17
	s_mul_i32 s17, s9, s17
	s_add_u32 s16, s16, s17
	s_mul_hi_u32 s18, s9, s1
	s_addc_u32 s11, s11, s19
	s_addc_u32 s16, s18, 0
	s_mul_i32 s1, s9, s1
	s_add_u32 s1, s11, s1
	s_addc_u32 s11, 0, s16
	s_add_u32 s16, s0, s1
	s_cselect_b64 s[0:1], -1, 0
	s_cmp_lg_u64 s[0:1], 0
	s_addc_u32 s9, s9, s11
	s_mul_i32 s0, s5, s9
	s_mul_hi_u32 s1, s5, s16
	s_add_i32 s0, s1, s0
	s_mul_i32 s8, s8, s16
	s_add_i32 s0, s0, s8
	s_mul_i32 s5, s5, s16
	s_mul_hi_u32 s8, s9, s5
	s_mul_i32 s11, s9, s5
	s_mul_i32 s18, s16, s0
	s_mul_hi_u32 s5, s16, s5
	s_mul_hi_u32 s17, s16, s0
	s_add_u32 s5, s5, s18
	s_addc_u32 s17, 0, s17
	s_add_u32 s5, s5, s11
	s_mul_hi_u32 s1, s9, s0
	s_addc_u32 s5, s17, s8
	s_addc_u32 s1, s1, 0
	s_mul_i32 s0, s9, s0
	s_add_u32 s0, s5, s0
	s_addc_u32 s5, 0, s1
	s_add_u32 s8, s16, s0
	s_cselect_b64 s[0:1], -1, 0
	s_cmp_lg_u64 s[0:1], 0
	v_add_co_u32_e32 v2, vcc, v4, v6
	s_addc_u32 s5, s9, s5
	v_xor_b32_e32 v7, v2, v6
	v_addc_co_u32_e32 v4, vcc, v5, v6, vcc
	v_mad_u64_u32 v[2:3], s[0:1], v7, s5, 0
	v_mul_hi_u32 v5, v7, s8
	v_xor_b32_e32 v8, v4, v6
	v_add_co_u32_e32 v9, vcc, v5, v2
	v_addc_co_u32_e32 v10, vcc, 0, v3, vcc
	v_mad_u64_u32 v[2:3], s[0:1], v8, s8, 0
	v_mad_u64_u32 v[4:5], s[0:1], v8, s5, 0
	v_add_co_u32_e32 v2, vcc, v9, v2
	v_addc_co_u32_e32 v2, vcc, v10, v3, vcc
	v_addc_co_u32_e32 v3, vcc, 0, v5, vcc
	v_add_co_u32_e32 v4, vcc, v2, v4
	v_addc_co_u32_e32 v5, vcc, 0, v3, vcc
	v_mul_lo_u32 v9, s7, v4
	v_mul_lo_u32 v10, s6, v5
	v_mad_u64_u32 v[2:3], s[0:1], s6, v4, 0
	v_add3_u32 v3, v3, v10, v9
	v_sub_u32_e32 v9, v8, v3
	v_mov_b32_e32 v10, s7
	v_sub_co_u32_e32 v2, vcc, v7, v2
	v_subb_co_u32_e64 v7, s[0:1], v9, v10, vcc
	v_subrev_co_u32_e64 v9, s[0:1], s6, v2
	v_subbrev_co_u32_e64 v7, s[0:1], 0, v7, s[0:1]
	v_cmp_le_u32_e64 s[0:1], s7, v7
	v_cndmask_b32_e64 v10, 0, -1, s[0:1]
	v_cmp_le_u32_e64 s[0:1], s6, v9
	v_cndmask_b32_e64 v9, 0, -1, s[0:1]
	v_cmp_eq_u32_e64 s[0:1], s7, v7
	v_cndmask_b32_e64 v7, v10, v9, s[0:1]
	v_add_co_u32_e64 v9, s[0:1], 2, v4
	v_subb_co_u32_e32 v3, vcc, v8, v3, vcc
	v_addc_co_u32_e64 v10, s[0:1], 0, v5, s[0:1]
	v_cmp_le_u32_e32 vcc, s7, v3
	v_add_co_u32_e64 v11, s[0:1], 1, v4
	v_cndmask_b32_e64 v8, 0, -1, vcc
	v_cmp_le_u32_e32 vcc, s6, v2
	v_addc_co_u32_e64 v12, s[0:1], 0, v5, s[0:1]
	v_cndmask_b32_e64 v2, 0, -1, vcc
	v_cmp_eq_u32_e32 vcc, s7, v3
	v_cmp_ne_u32_e64 s[0:1], 0, v7
	v_cndmask_b32_e32 v2, v8, v2, vcc
	v_cndmask_b32_e64 v7, v12, v10, s[0:1]
	v_cmp_ne_u32_e32 vcc, 0, v2
	v_cndmask_b32_e64 v3, v11, v9, s[0:1]
	v_cndmask_b32_e32 v2, v5, v7, vcc
	v_cndmask_b32_e32 v3, v4, v3, vcc
	v_xor_b32_e32 v4, s4, v6
	v_xor_b32_e32 v5, v2, v4
	;; [unrolled: 1-line block ×3, first 2 shown]
	v_sub_co_u32_e32 v2, vcc, v2, v4
	v_subb_co_u32_e32 v3, vcc, v5, v4, vcc
                                        ; implicit-def: $vgpr4
.LBB2_12:
	s_andn2_saveexec_b64 s[0:1], s[2:3]
	s_cbranch_execz .LBB2_14
; %bb.13:
	v_cvt_f32_u32_e32 v2, s10
	s_sub_i32 s2, 0, s10
	v_rcp_iflag_f32_e32 v2, v2
	v_mul_f32_e32 v2, 0x4f7ffffe, v2
	v_cvt_u32_f32_e32 v2, v2
	v_mul_lo_u32 v3, s2, v2
	v_mul_hi_u32 v3, v2, v3
	v_add_u32_e32 v2, v2, v3
	v_mul_hi_u32 v2, v4, v2
	v_mul_lo_u32 v3, v2, s10
	v_add_u32_e32 v5, 1, v2
	v_sub_u32_e32 v3, v4, v3
	v_subrev_u32_e32 v4, s10, v3
	v_cmp_le_u32_e32 vcc, s10, v3
	v_cndmask_b32_e32 v3, v3, v4, vcc
	v_cndmask_b32_e32 v2, v2, v5, vcc
	v_add_u32_e32 v4, 1, v2
	v_cmp_le_u32_e32 vcc, s10, v3
	v_cndmask_b32_e32 v2, v2, v4, vcc
	v_mov_b32_e32 v3, 0
.LBB2_14:
	s_or_b64 exec, exec, s[0:1]
	v_lshlrev_b64 v[2:3], 2, v[2:3]
	v_mov_b32_e32 v4, s13
	v_add_co_u32_e32 v2, vcc, s12, v2
	v_addc_co_u32_e32 v3, vcc, v4, v3, vcc
	global_load_dword v2, v[2:3], off
	v_lshlrev_b64 v[0:1], 2, v[0:1]
	v_mov_b32_e32 v3, s15
	v_add_co_u32_e32 v0, vcc, s14, v0
	v_addc_co_u32_e32 v1, vcc, v3, v1, vcc
	s_waitcnt vmcnt(0)
	flat_store_dword v[0:1], v2
	s_endpgm
	.section	.rodata,"a",@progbits
	.p2align	6, 0x0
	.amdhsa_kernel _ZN6thrust23THRUST_200600_302600_NS11hip_rocprim14__parallel_for6kernelILj256ENS1_20__uninitialized_copy7functorINS0_20permutation_iteratorINS0_6detail15normal_iteratorINS0_10device_ptrIiEEEENS0_18transform_iteratorIN14repeated_rangeISB_E14repeat_functorENS0_17counting_iteratorIlNS0_11use_defaultESH_SH_EESH_SH_EEEENS0_7pointerIiNS1_3tagESH_SH_EEEEmLj1EEEvT0_T1_SQ_
		.amdhsa_group_segment_fixed_size 0
		.amdhsa_private_segment_fixed_size 0
		.amdhsa_kernarg_size 48
		.amdhsa_user_sgpr_count 6
		.amdhsa_user_sgpr_private_segment_buffer 1
		.amdhsa_user_sgpr_dispatch_ptr 0
		.amdhsa_user_sgpr_queue_ptr 0
		.amdhsa_user_sgpr_kernarg_segment_ptr 1
		.amdhsa_user_sgpr_dispatch_id 0
		.amdhsa_user_sgpr_flat_scratch_init 0
		.amdhsa_user_sgpr_private_segment_size 0
		.amdhsa_uses_dynamic_stack 0
		.amdhsa_system_sgpr_private_segment_wavefront_offset 0
		.amdhsa_system_sgpr_workgroup_id_x 1
		.amdhsa_system_sgpr_workgroup_id_y 0
		.amdhsa_system_sgpr_workgroup_id_z 0
		.amdhsa_system_sgpr_workgroup_info 0
		.amdhsa_system_vgpr_workitem_id 0
		.amdhsa_next_free_vgpr 14
		.amdhsa_next_free_sgpr 27
		.amdhsa_reserve_vcc 1
		.amdhsa_reserve_flat_scratch 0
		.amdhsa_float_round_mode_32 0
		.amdhsa_float_round_mode_16_64 0
		.amdhsa_float_denorm_mode_32 3
		.amdhsa_float_denorm_mode_16_64 3
		.amdhsa_dx10_clamp 1
		.amdhsa_ieee_mode 1
		.amdhsa_fp16_overflow 0
		.amdhsa_exception_fp_ieee_invalid_op 0
		.amdhsa_exception_fp_denorm_src 0
		.amdhsa_exception_fp_ieee_div_zero 0
		.amdhsa_exception_fp_ieee_overflow 0
		.amdhsa_exception_fp_ieee_underflow 0
		.amdhsa_exception_fp_ieee_inexact 0
		.amdhsa_exception_int_div_zero 0
	.end_amdhsa_kernel
	.section	.text._ZN6thrust23THRUST_200600_302600_NS11hip_rocprim14__parallel_for6kernelILj256ENS1_20__uninitialized_copy7functorINS0_20permutation_iteratorINS0_6detail15normal_iteratorINS0_10device_ptrIiEEEENS0_18transform_iteratorIN14repeated_rangeISB_E14repeat_functorENS0_17counting_iteratorIlNS0_11use_defaultESH_SH_EESH_SH_EEEENS0_7pointerIiNS1_3tagESH_SH_EEEEmLj1EEEvT0_T1_SQ_,"axG",@progbits,_ZN6thrust23THRUST_200600_302600_NS11hip_rocprim14__parallel_for6kernelILj256ENS1_20__uninitialized_copy7functorINS0_20permutation_iteratorINS0_6detail15normal_iteratorINS0_10device_ptrIiEEEENS0_18transform_iteratorIN14repeated_rangeISB_E14repeat_functorENS0_17counting_iteratorIlNS0_11use_defaultESH_SH_EESH_SH_EEEENS0_7pointerIiNS1_3tagESH_SH_EEEEmLj1EEEvT0_T1_SQ_,comdat
.Lfunc_end2:
	.size	_ZN6thrust23THRUST_200600_302600_NS11hip_rocprim14__parallel_for6kernelILj256ENS1_20__uninitialized_copy7functorINS0_20permutation_iteratorINS0_6detail15normal_iteratorINS0_10device_ptrIiEEEENS0_18transform_iteratorIN14repeated_rangeISB_E14repeat_functorENS0_17counting_iteratorIlNS0_11use_defaultESH_SH_EESH_SH_EEEENS0_7pointerIiNS1_3tagESH_SH_EEEEmLj1EEEvT0_T1_SQ_, .Lfunc_end2-_ZN6thrust23THRUST_200600_302600_NS11hip_rocprim14__parallel_for6kernelILj256ENS1_20__uninitialized_copy7functorINS0_20permutation_iteratorINS0_6detail15normal_iteratorINS0_10device_ptrIiEEEENS0_18transform_iteratorIN14repeated_rangeISB_E14repeat_functorENS0_17counting_iteratorIlNS0_11use_defaultESH_SH_EESH_SH_EEEENS0_7pointerIiNS1_3tagESH_SH_EEEEmLj1EEEvT0_T1_SQ_
                                        ; -- End function
	.set _ZN6thrust23THRUST_200600_302600_NS11hip_rocprim14__parallel_for6kernelILj256ENS1_20__uninitialized_copy7functorINS0_20permutation_iteratorINS0_6detail15normal_iteratorINS0_10device_ptrIiEEEENS0_18transform_iteratorIN14repeated_rangeISB_E14repeat_functorENS0_17counting_iteratorIlNS0_11use_defaultESH_SH_EESH_SH_EEEENS0_7pointerIiNS1_3tagESH_SH_EEEEmLj1EEEvT0_T1_SQ_.num_vgpr, 14
	.set _ZN6thrust23THRUST_200600_302600_NS11hip_rocprim14__parallel_for6kernelILj256ENS1_20__uninitialized_copy7functorINS0_20permutation_iteratorINS0_6detail15normal_iteratorINS0_10device_ptrIiEEEENS0_18transform_iteratorIN14repeated_rangeISB_E14repeat_functorENS0_17counting_iteratorIlNS0_11use_defaultESH_SH_EESH_SH_EEEENS0_7pointerIiNS1_3tagESH_SH_EEEEmLj1EEEvT0_T1_SQ_.num_agpr, 0
	.set _ZN6thrust23THRUST_200600_302600_NS11hip_rocprim14__parallel_for6kernelILj256ENS1_20__uninitialized_copy7functorINS0_20permutation_iteratorINS0_6detail15normal_iteratorINS0_10device_ptrIiEEEENS0_18transform_iteratorIN14repeated_rangeISB_E14repeat_functorENS0_17counting_iteratorIlNS0_11use_defaultESH_SH_EESH_SH_EEEENS0_7pointerIiNS1_3tagESH_SH_EEEEmLj1EEEvT0_T1_SQ_.numbered_sgpr, 27
	.set _ZN6thrust23THRUST_200600_302600_NS11hip_rocprim14__parallel_for6kernelILj256ENS1_20__uninitialized_copy7functorINS0_20permutation_iteratorINS0_6detail15normal_iteratorINS0_10device_ptrIiEEEENS0_18transform_iteratorIN14repeated_rangeISB_E14repeat_functorENS0_17counting_iteratorIlNS0_11use_defaultESH_SH_EESH_SH_EEEENS0_7pointerIiNS1_3tagESH_SH_EEEEmLj1EEEvT0_T1_SQ_.num_named_barrier, 0
	.set _ZN6thrust23THRUST_200600_302600_NS11hip_rocprim14__parallel_for6kernelILj256ENS1_20__uninitialized_copy7functorINS0_20permutation_iteratorINS0_6detail15normal_iteratorINS0_10device_ptrIiEEEENS0_18transform_iteratorIN14repeated_rangeISB_E14repeat_functorENS0_17counting_iteratorIlNS0_11use_defaultESH_SH_EESH_SH_EEEENS0_7pointerIiNS1_3tagESH_SH_EEEEmLj1EEEvT0_T1_SQ_.private_seg_size, 0
	.set _ZN6thrust23THRUST_200600_302600_NS11hip_rocprim14__parallel_for6kernelILj256ENS1_20__uninitialized_copy7functorINS0_20permutation_iteratorINS0_6detail15normal_iteratorINS0_10device_ptrIiEEEENS0_18transform_iteratorIN14repeated_rangeISB_E14repeat_functorENS0_17counting_iteratorIlNS0_11use_defaultESH_SH_EESH_SH_EEEENS0_7pointerIiNS1_3tagESH_SH_EEEEmLj1EEEvT0_T1_SQ_.uses_vcc, 1
	.set _ZN6thrust23THRUST_200600_302600_NS11hip_rocprim14__parallel_for6kernelILj256ENS1_20__uninitialized_copy7functorINS0_20permutation_iteratorINS0_6detail15normal_iteratorINS0_10device_ptrIiEEEENS0_18transform_iteratorIN14repeated_rangeISB_E14repeat_functorENS0_17counting_iteratorIlNS0_11use_defaultESH_SH_EESH_SH_EEEENS0_7pointerIiNS1_3tagESH_SH_EEEEmLj1EEEvT0_T1_SQ_.uses_flat_scratch, 0
	.set _ZN6thrust23THRUST_200600_302600_NS11hip_rocprim14__parallel_for6kernelILj256ENS1_20__uninitialized_copy7functorINS0_20permutation_iteratorINS0_6detail15normal_iteratorINS0_10device_ptrIiEEEENS0_18transform_iteratorIN14repeated_rangeISB_E14repeat_functorENS0_17counting_iteratorIlNS0_11use_defaultESH_SH_EESH_SH_EEEENS0_7pointerIiNS1_3tagESH_SH_EEEEmLj1EEEvT0_T1_SQ_.has_dyn_sized_stack, 0
	.set _ZN6thrust23THRUST_200600_302600_NS11hip_rocprim14__parallel_for6kernelILj256ENS1_20__uninitialized_copy7functorINS0_20permutation_iteratorINS0_6detail15normal_iteratorINS0_10device_ptrIiEEEENS0_18transform_iteratorIN14repeated_rangeISB_E14repeat_functorENS0_17counting_iteratorIlNS0_11use_defaultESH_SH_EESH_SH_EEEENS0_7pointerIiNS1_3tagESH_SH_EEEEmLj1EEEvT0_T1_SQ_.has_recursion, 0
	.set _ZN6thrust23THRUST_200600_302600_NS11hip_rocprim14__parallel_for6kernelILj256ENS1_20__uninitialized_copy7functorINS0_20permutation_iteratorINS0_6detail15normal_iteratorINS0_10device_ptrIiEEEENS0_18transform_iteratorIN14repeated_rangeISB_E14repeat_functorENS0_17counting_iteratorIlNS0_11use_defaultESH_SH_EESH_SH_EEEENS0_7pointerIiNS1_3tagESH_SH_EEEEmLj1EEEvT0_T1_SQ_.has_indirect_call, 0
	.section	.AMDGPU.csdata,"",@progbits
; Kernel info:
; codeLenInByte = 1764
; TotalNumSgprs: 31
; NumVgprs: 14
; ScratchSize: 0
; MemoryBound: 0
; FloatMode: 240
; IeeeMode: 1
; LDSByteSize: 0 bytes/workgroup (compile time only)
; SGPRBlocks: 3
; VGPRBlocks: 3
; NumSGPRsForWavesPerEU: 31
; NumVGPRsForWavesPerEU: 14
; Occupancy: 10
; WaveLimiterHint : 0
; COMPUTE_PGM_RSRC2:SCRATCH_EN: 0
; COMPUTE_PGM_RSRC2:USER_SGPR: 6
; COMPUTE_PGM_RSRC2:TRAP_HANDLER: 0
; COMPUTE_PGM_RSRC2:TGID_X_EN: 1
; COMPUTE_PGM_RSRC2:TGID_Y_EN: 0
; COMPUTE_PGM_RSRC2:TGID_Z_EN: 0
; COMPUTE_PGM_RSRC2:TIDIG_COMP_CNT: 0
	.section	.AMDGPU.gpr_maximums,"",@progbits
	.set amdgpu.max_num_vgpr, 0
	.set amdgpu.max_num_agpr, 0
	.set amdgpu.max_num_sgpr, 0
	.section	.AMDGPU.csdata,"",@progbits
	.type	__hip_cuid_84904c0c256c7d7,@object ; @__hip_cuid_84904c0c256c7d7
	.section	.bss,"aw",@nobits
	.globl	__hip_cuid_84904c0c256c7d7
__hip_cuid_84904c0c256c7d7:
	.byte	0                               ; 0x0
	.size	__hip_cuid_84904c0c256c7d7, 1

	.ident	"AMD clang version 22.0.0git (https://github.com/RadeonOpenCompute/llvm-project roc-7.2.4 26084 f58b06dce1f9c15707c5f808fd002e18c2accf7e)"
	.section	".note.GNU-stack","",@progbits
	.addrsig
	.addrsig_sym __hip_cuid_84904c0c256c7d7
	.amdgpu_metadata
---
amdhsa.kernels:
  - .args:
      - .offset:         0
        .size:           16
        .value_kind:     by_value
      - .offset:         16
        .size:           8
        .value_kind:     by_value
      - .offset:         24
        .size:           8
        .value_kind:     by_value
    .group_segment_fixed_size: 0
    .kernarg_segment_align: 8
    .kernarg_segment_size: 32
    .language:       OpenCL C
    .language_version:
      - 2
      - 0
    .max_flat_workgroup_size: 256
    .name:           _ZN6thrust23THRUST_200600_302600_NS11hip_rocprim14__parallel_for6kernelILj256ENS1_20__uninitialized_fill7functorINS0_10device_ptrIiEEiEEmLj1EEEvT0_T1_SA_
    .private_segment_fixed_size: 0
    .sgpr_count:     20
    .sgpr_spill_count: 0
    .symbol:         _ZN6thrust23THRUST_200600_302600_NS11hip_rocprim14__parallel_for6kernelILj256ENS1_20__uninitialized_fill7functorINS0_10device_ptrIiEEiEEmLj1EEEvT0_T1_SA_.kd
    .uniform_work_group_size: 1
    .uses_dynamic_stack: false
    .vgpr_count:     4
    .vgpr_spill_count: 0
    .wavefront_size: 64
  - .args:
      - .offset:         0
        .size:           16
        .value_kind:     by_value
      - .offset:         16
        .size:           8
        .value_kind:     by_value
      - .offset:         24
        .size:           8
        .value_kind:     by_value
    .group_segment_fixed_size: 0
    .kernarg_segment_align: 8
    .kernarg_segment_size: 32
    .language:       OpenCL C
    .language_version:
      - 2
      - 0
    .max_flat_workgroup_size: 256
    .name:           _ZN6thrust23THRUST_200600_302600_NS11hip_rocprim14__parallel_for6kernelILj256ENS1_20__uninitialized_copy7functorINS0_6detail15normal_iteratorINS0_10device_ptrIiEEEENS0_7pointerIiNS1_3tagENS0_11use_defaultESD_EEEEmLj1EEEvT0_T1_SH_
    .private_segment_fixed_size: 0
    .sgpr_count:     20
    .sgpr_spill_count: 0
    .symbol:         _ZN6thrust23THRUST_200600_302600_NS11hip_rocprim14__parallel_for6kernelILj256ENS1_20__uninitialized_copy7functorINS0_6detail15normal_iteratorINS0_10device_ptrIiEEEENS0_7pointerIiNS1_3tagENS0_11use_defaultESD_EEEEmLj1EEEvT0_T1_SH_.kd
    .uniform_work_group_size: 1
    .uses_dynamic_stack: false
    .vgpr_count:     5
    .vgpr_spill_count: 0
    .wavefront_size: 64
  - .args:
      - .offset:         0
        .size:           32
        .value_kind:     by_value
      - .offset:         32
        .size:           8
        .value_kind:     by_value
      - .offset:         40
        .size:           8
        .value_kind:     by_value
    .group_segment_fixed_size: 0
    .kernarg_segment_align: 8
    .kernarg_segment_size: 48
    .language:       OpenCL C
    .language_version:
      - 2
      - 0
    .max_flat_workgroup_size: 256
    .name:           _ZN6thrust23THRUST_200600_302600_NS11hip_rocprim14__parallel_for6kernelILj256ENS1_20__uninitialized_copy7functorINS0_20permutation_iteratorINS0_6detail15normal_iteratorINS0_10device_ptrIiEEEENS0_18transform_iteratorIN14repeated_rangeISB_E14repeat_functorENS0_17counting_iteratorIlNS0_11use_defaultESH_SH_EESH_SH_EEEENS0_7pointerIiNS1_3tagESH_SH_EEEEmLj1EEEvT0_T1_SQ_
    .private_segment_fixed_size: 0
    .sgpr_count:     31
    .sgpr_spill_count: 0
    .symbol:         _ZN6thrust23THRUST_200600_302600_NS11hip_rocprim14__parallel_for6kernelILj256ENS1_20__uninitialized_copy7functorINS0_20permutation_iteratorINS0_6detail15normal_iteratorINS0_10device_ptrIiEEEENS0_18transform_iteratorIN14repeated_rangeISB_E14repeat_functorENS0_17counting_iteratorIlNS0_11use_defaultESH_SH_EESH_SH_EEEENS0_7pointerIiNS1_3tagESH_SH_EEEEmLj1EEEvT0_T1_SQ_.kd
    .uniform_work_group_size: 1
    .uses_dynamic_stack: false
    .vgpr_count:     14
    .vgpr_spill_count: 0
    .wavefront_size: 64
amdhsa.target:   amdgcn-amd-amdhsa--gfx906
amdhsa.version:
  - 1
  - 2
...

	.end_amdgpu_metadata
